;; amdgpu-corpus repo=zjin-lcf/HeCBench kind=compiled arch=gfx906 opt=O3
	.amdgcn_target "amdgcn-amd-amdhsa--gfx906"
	.amdhsa_code_object_version 6
	.section	.text._Z19DetectionOverlayBoxI15HIP_vector_typeIfLj3EEEvPKT_PS2_iiiiiiS0_IfLj4EE,"axG",@progbits,_Z19DetectionOverlayBoxI15HIP_vector_typeIfLj3EEEvPKT_PS2_iiiiiiS0_IfLj4EE,comdat
	.protected	_Z19DetectionOverlayBoxI15HIP_vector_typeIfLj3EEEvPKT_PS2_iiiiiiS0_IfLj4EE ; -- Begin function _Z19DetectionOverlayBoxI15HIP_vector_typeIfLj3EEEvPKT_PS2_iiiiiiS0_IfLj4EE
	.globl	_Z19DetectionOverlayBoxI15HIP_vector_typeIfLj3EEEvPKT_PS2_iiiiiiS0_IfLj4EE
	.p2align	8
	.type	_Z19DetectionOverlayBoxI15HIP_vector_typeIfLj3EEEvPKT_PS2_iiiiiiS0_IfLj4EE,@function
_Z19DetectionOverlayBoxI15HIP_vector_typeIfLj3EEEvPKT_PS2_iiiiiiS0_IfLj4EE: ; @_Z19DetectionOverlayBoxI15HIP_vector_typeIfLj3EEEvPKT_PS2_iiiiiiS0_IfLj4EE
; %bb.0:
	s_load_dword s2, s[4:5], 0x4c
	s_load_dwordx4 s[8:11], s[4:5], 0x10
	s_load_dwordx2 s[0:1], s[4:5], 0x20
	s_waitcnt lgkmcnt(0)
	s_lshr_b32 s3, s2, 16
	s_and_b32 s2, s2, 0xffff
	s_mul_i32 s6, s6, s2
	s_mul_i32 s7, s7, s3
	v_add_u32_e32 v0, s6, v0
	v_add_u32_e32 v1, s7, v1
	v_cmp_gt_i32_e32 vcc, s0, v0
	v_cmp_gt_i32_e64 s[0:1], s1, v1
	v_add_u32_e32 v0, s10, v0
	v_add_u32_e32 v1, s11, v1
	s_and_b64 s[2:3], vcc, s[0:1]
	v_cmp_gt_i32_e32 vcc, s8, v0
	v_cmp_gt_i32_e64 s[0:1], s9, v1
	s_and_b64 s[0:1], vcc, s[0:1]
	s_and_b64 s[0:1], s[2:3], s[0:1]
	s_and_saveexec_b64 s[2:3], s[0:1]
	s_cbranch_execz .LBB0_2
; %bb.1:
	s_load_dwordx4 s[0:3], s[4:5], 0x0
	v_mad_u64_u32 v[3:4], s[6:7], v1, s8, v[0:1]
	s_load_dwordx4 s[4:7], s[4:5], 0x30
	s_mov_b32 s8, 0x437f0000
	s_waitcnt lgkmcnt(0)
	v_mad_i64_i32 v[0:1], s[0:1], v3, 12, s[0:1]
	v_mov_b32_e32 v6, 0x437f0000
	v_mov_b32_e32 v5, s7
	global_load_dwordx3 v[0:2], v[0:1], off
	v_div_scale_f32 v4, s[0:1], s8, s8, v5
	v_div_scale_f32 v6, vcc, s7, v6, s7
	v_rcp_f32_e32 v7, v4
	v_fma_f32 v8, -v4, v7, 1.0
	v_fmac_f32_e32 v7, v8, v7
	v_mul_f32_e32 v8, v6, v7
	v_fma_f32 v9, -v4, v8, v6
	v_fmac_f32_e32 v8, v9, v7
	v_fma_f32 v4, -v4, v8, v6
	v_div_fmas_f32 v6, v4, v7, v8
	v_mad_i64_i32 v[3:4], s[0:1], v3, 12, s[2:3]
	v_div_fixup_f32 v5, v6, s8, v5
	v_sub_f32_e32 v6, 1.0, v5
	s_waitcnt vmcnt(0)
	v_mul_f32_e32 v0, v6, v0
	v_mul_f32_e32 v1, v6, v1
	;; [unrolled: 1-line block ×3, first 2 shown]
	v_fmac_f32_e32 v0, s4, v5
	v_fmac_f32_e32 v1, s5, v5
	;; [unrolled: 1-line block ×3, first 2 shown]
	global_store_dwordx3 v[3:4], v[0:2], off
.LBB0_2:
	s_endpgm
	.section	.rodata,"a",@progbits
	.p2align	6, 0x0
	.amdhsa_kernel _Z19DetectionOverlayBoxI15HIP_vector_typeIfLj3EEEvPKT_PS2_iiiiiiS0_IfLj4EE
		.amdhsa_group_segment_fixed_size 0
		.amdhsa_private_segment_fixed_size 0
		.amdhsa_kernarg_size 320
		.amdhsa_user_sgpr_count 6
		.amdhsa_user_sgpr_private_segment_buffer 1
		.amdhsa_user_sgpr_dispatch_ptr 0
		.amdhsa_user_sgpr_queue_ptr 0
		.amdhsa_user_sgpr_kernarg_segment_ptr 1
		.amdhsa_user_sgpr_dispatch_id 0
		.amdhsa_user_sgpr_flat_scratch_init 0
		.amdhsa_user_sgpr_private_segment_size 0
		.amdhsa_uses_dynamic_stack 0
		.amdhsa_system_sgpr_private_segment_wavefront_offset 0
		.amdhsa_system_sgpr_workgroup_id_x 1
		.amdhsa_system_sgpr_workgroup_id_y 1
		.amdhsa_system_sgpr_workgroup_id_z 0
		.amdhsa_system_sgpr_workgroup_info 0
		.amdhsa_system_vgpr_workitem_id 1
		.amdhsa_next_free_vgpr 10
		.amdhsa_next_free_sgpr 12
		.amdhsa_reserve_vcc 1
		.amdhsa_reserve_flat_scratch 0
		.amdhsa_float_round_mode_32 0
		.amdhsa_float_round_mode_16_64 0
		.amdhsa_float_denorm_mode_32 3
		.amdhsa_float_denorm_mode_16_64 3
		.amdhsa_dx10_clamp 1
		.amdhsa_ieee_mode 1
		.amdhsa_fp16_overflow 0
		.amdhsa_exception_fp_ieee_invalid_op 0
		.amdhsa_exception_fp_denorm_src 0
		.amdhsa_exception_fp_ieee_div_zero 0
		.amdhsa_exception_fp_ieee_overflow 0
		.amdhsa_exception_fp_ieee_underflow 0
		.amdhsa_exception_fp_ieee_inexact 0
		.amdhsa_exception_int_div_zero 0
	.end_amdhsa_kernel
	.section	.text._Z19DetectionOverlayBoxI15HIP_vector_typeIfLj3EEEvPKT_PS2_iiiiiiS0_IfLj4EE,"axG",@progbits,_Z19DetectionOverlayBoxI15HIP_vector_typeIfLj3EEEvPKT_PS2_iiiiiiS0_IfLj4EE,comdat
.Lfunc_end0:
	.size	_Z19DetectionOverlayBoxI15HIP_vector_typeIfLj3EEEvPKT_PS2_iiiiiiS0_IfLj4EE, .Lfunc_end0-_Z19DetectionOverlayBoxI15HIP_vector_typeIfLj3EEEvPKT_PS2_iiiiiiS0_IfLj4EE
                                        ; -- End function
	.set _Z19DetectionOverlayBoxI15HIP_vector_typeIfLj3EEEvPKT_PS2_iiiiiiS0_IfLj4EE.num_vgpr, 10
	.set _Z19DetectionOverlayBoxI15HIP_vector_typeIfLj3EEEvPKT_PS2_iiiiiiS0_IfLj4EE.num_agpr, 0
	.set _Z19DetectionOverlayBoxI15HIP_vector_typeIfLj3EEEvPKT_PS2_iiiiiiS0_IfLj4EE.numbered_sgpr, 12
	.set _Z19DetectionOverlayBoxI15HIP_vector_typeIfLj3EEEvPKT_PS2_iiiiiiS0_IfLj4EE.num_named_barrier, 0
	.set _Z19DetectionOverlayBoxI15HIP_vector_typeIfLj3EEEvPKT_PS2_iiiiiiS0_IfLj4EE.private_seg_size, 0
	.set _Z19DetectionOverlayBoxI15HIP_vector_typeIfLj3EEEvPKT_PS2_iiiiiiS0_IfLj4EE.uses_vcc, 1
	.set _Z19DetectionOverlayBoxI15HIP_vector_typeIfLj3EEEvPKT_PS2_iiiiiiS0_IfLj4EE.uses_flat_scratch, 0
	.set _Z19DetectionOverlayBoxI15HIP_vector_typeIfLj3EEEvPKT_PS2_iiiiiiS0_IfLj4EE.has_dyn_sized_stack, 0
	.set _Z19DetectionOverlayBoxI15HIP_vector_typeIfLj3EEEvPKT_PS2_iiiiiiS0_IfLj4EE.has_recursion, 0
	.set _Z19DetectionOverlayBoxI15HIP_vector_typeIfLj3EEEvPKT_PS2_iiiiiiS0_IfLj4EE.has_indirect_call, 0
	.section	.AMDGPU.csdata,"",@progbits
; Kernel info:
; codeLenInByte = 296
; TotalNumSgprs: 16
; NumVgprs: 10
; ScratchSize: 0
; MemoryBound: 0
; FloatMode: 240
; IeeeMode: 1
; LDSByteSize: 0 bytes/workgroup (compile time only)
; SGPRBlocks: 1
; VGPRBlocks: 2
; NumSGPRsForWavesPerEU: 16
; NumVGPRsForWavesPerEU: 10
; Occupancy: 10
; WaveLimiterHint : 0
; COMPUTE_PGM_RSRC2:SCRATCH_EN: 0
; COMPUTE_PGM_RSRC2:USER_SGPR: 6
; COMPUTE_PGM_RSRC2:TRAP_HANDLER: 0
; COMPUTE_PGM_RSRC2:TGID_X_EN: 1
; COMPUTE_PGM_RSRC2:TGID_Y_EN: 1
; COMPUTE_PGM_RSRC2:TGID_Z_EN: 0
; COMPUTE_PGM_RSRC2:TIDIG_COMP_CNT: 1
	.section	.AMDGPU.gpr_maximums,"",@progbits
	.set amdgpu.max_num_vgpr, 0
	.set amdgpu.max_num_agpr, 0
	.set amdgpu.max_num_sgpr, 0
	.section	.AMDGPU.csdata,"",@progbits
	.type	__hip_cuid_b1389f4acdbce314,@object ; @__hip_cuid_b1389f4acdbce314
	.section	.bss,"aw",@nobits
	.globl	__hip_cuid_b1389f4acdbce314
__hip_cuid_b1389f4acdbce314:
	.byte	0                               ; 0x0
	.size	__hip_cuid_b1389f4acdbce314, 1

	.ident	"AMD clang version 22.0.0git (https://github.com/RadeonOpenCompute/llvm-project roc-7.2.4 26084 f58b06dce1f9c15707c5f808fd002e18c2accf7e)"
	.section	".note.GNU-stack","",@progbits
	.addrsig
	.addrsig_sym __hip_cuid_b1389f4acdbce314
	.amdgpu_metadata
---
amdhsa.kernels:
  - .args:
      - .actual_access:  read_only
        .address_space:  global
        .offset:         0
        .size:           8
        .value_kind:     global_buffer
      - .actual_access:  write_only
        .address_space:  global
        .offset:         8
        .size:           8
        .value_kind:     global_buffer
      - .offset:         16
        .size:           4
        .value_kind:     by_value
      - .offset:         20
        .size:           4
        .value_kind:     by_value
      - .offset:         24
        .size:           4
        .value_kind:     by_value
      - .offset:         28
        .size:           4
        .value_kind:     by_value
      - .offset:         32
        .size:           4
        .value_kind:     by_value
      - .offset:         36
        .size:           4
        .value_kind:     by_value
      - .offset:         48
        .size:           16
        .value_kind:     by_value
      - .offset:         64
        .size:           4
        .value_kind:     hidden_block_count_x
      - .offset:         68
        .size:           4
        .value_kind:     hidden_block_count_y
      - .offset:         72
        .size:           4
        .value_kind:     hidden_block_count_z
      - .offset:         76
        .size:           2
        .value_kind:     hidden_group_size_x
      - .offset:         78
        .size:           2
        .value_kind:     hidden_group_size_y
      - .offset:         80
        .size:           2
        .value_kind:     hidden_group_size_z
      - .offset:         82
        .size:           2
        .value_kind:     hidden_remainder_x
      - .offset:         84
        .size:           2
        .value_kind:     hidden_remainder_y
      - .offset:         86
        .size:           2
        .value_kind:     hidden_remainder_z
      - .offset:         104
        .size:           8
        .value_kind:     hidden_global_offset_x
      - .offset:         112
        .size:           8
        .value_kind:     hidden_global_offset_y
      - .offset:         120
        .size:           8
        .value_kind:     hidden_global_offset_z
      - .offset:         128
        .size:           2
        .value_kind:     hidden_grid_dims
    .group_segment_fixed_size: 0
    .kernarg_segment_align: 16
    .kernarg_segment_size: 320
    .language:       OpenCL C
    .language_version:
      - 2
      - 0
    .max_flat_workgroup_size: 1024
    .name:           _Z19DetectionOverlayBoxI15HIP_vector_typeIfLj3EEEvPKT_PS2_iiiiiiS0_IfLj4EE
    .private_segment_fixed_size: 0
    .sgpr_count:     16
    .sgpr_spill_count: 0
    .symbol:         _Z19DetectionOverlayBoxI15HIP_vector_typeIfLj3EEEvPKT_PS2_iiiiiiS0_IfLj4EE.kd
    .uniform_work_group_size: 1
    .uses_dynamic_stack: false
    .vgpr_count:     10
    .vgpr_spill_count: 0
    .wavefront_size: 64
amdhsa.target:   amdgcn-amd-amdhsa--gfx906
amdhsa.version:
  - 1
  - 2
...

	.end_amdgpu_metadata
